;; amdgpu-corpus repo=ROCm/rocFFT kind=compiled arch=gfx1030 opt=O3
	.text
	.amdgcn_target "amdgcn-amd-amdhsa--gfx1030"
	.amdhsa_code_object_version 6
	.protected	fft_rtc_fwd_len1331_factors_11_11_11_wgs_242_tpt_121_halfLds_sp_op_CI_CI_unitstride_sbrr_dirReg ; -- Begin function fft_rtc_fwd_len1331_factors_11_11_11_wgs_242_tpt_121_halfLds_sp_op_CI_CI_unitstride_sbrr_dirReg
	.globl	fft_rtc_fwd_len1331_factors_11_11_11_wgs_242_tpt_121_halfLds_sp_op_CI_CI_unitstride_sbrr_dirReg
	.p2align	8
	.type	fft_rtc_fwd_len1331_factors_11_11_11_wgs_242_tpt_121_halfLds_sp_op_CI_CI_unitstride_sbrr_dirReg,@function
fft_rtc_fwd_len1331_factors_11_11_11_wgs_242_tpt_121_halfLds_sp_op_CI_CI_unitstride_sbrr_dirReg: ; @fft_rtc_fwd_len1331_factors_11_11_11_wgs_242_tpt_121_halfLds_sp_op_CI_CI_unitstride_sbrr_dirReg
; %bb.0:
	s_clause 0x2
	s_load_dwordx4 s[12:15], s[4:5], 0x0
	s_load_dwordx4 s[8:11], s[4:5], 0x58
	;; [unrolled: 1-line block ×3, first 2 shown]
	v_mul_u32_u24_e32 v1, 0x21e, v0
	v_mov_b32_e32 v4, 0
	v_mov_b32_e32 v2, 0
	;; [unrolled: 1-line block ×3, first 2 shown]
	v_lshrrev_b32_e32 v19, 16, v1
	v_mov_b32_e32 v7, v4
	v_lshl_add_u32 v6, s6, 1, v19
	s_waitcnt lgkmcnt(0)
	v_cmp_lt_u64_e64 s0, s[14:15], 2
	s_and_b32 vcc_lo, exec_lo, s0
	s_cbranch_vccnz .LBB0_8
; %bb.1:
	s_load_dwordx2 s[0:1], s[4:5], 0x10
	v_mov_b32_e32 v2, 0
	v_mov_b32_e32 v3, 0
	s_add_u32 s2, s18, 8
	s_addc_u32 s3, s19, 0
	s_add_u32 s6, s16, 8
	s_addc_u32 s7, s17, 0
	v_mov_b32_e32 v21, v3
	v_mov_b32_e32 v20, v2
	s_mov_b64 s[22:23], 1
	s_waitcnt lgkmcnt(0)
	s_add_u32 s20, s0, 8
	s_addc_u32 s21, s1, 0
.LBB0_2:                                ; =>This Inner Loop Header: Depth=1
	s_load_dwordx2 s[24:25], s[20:21], 0x0
                                        ; implicit-def: $vgpr24_vgpr25
	s_mov_b32 s0, exec_lo
	s_waitcnt lgkmcnt(0)
	v_or_b32_e32 v5, s25, v7
	v_cmpx_ne_u64_e32 0, v[4:5]
	s_xor_b32 s1, exec_lo, s0
	s_cbranch_execz .LBB0_4
; %bb.3:                                ;   in Loop: Header=BB0_2 Depth=1
	v_cvt_f32_u32_e32 v1, s24
	v_cvt_f32_u32_e32 v5, s25
	s_sub_u32 s0, 0, s24
	s_subb_u32 s26, 0, s25
	v_fmac_f32_e32 v1, 0x4f800000, v5
	v_rcp_f32_e32 v1, v1
	v_mul_f32_e32 v1, 0x5f7ffffc, v1
	v_mul_f32_e32 v5, 0x2f800000, v1
	v_trunc_f32_e32 v5, v5
	v_fmac_f32_e32 v1, 0xcf800000, v5
	v_cvt_u32_f32_e32 v5, v5
	v_cvt_u32_f32_e32 v1, v1
	v_mul_lo_u32 v8, s0, v5
	v_mul_hi_u32 v9, s0, v1
	v_mul_lo_u32 v10, s26, v1
	v_add_nc_u32_e32 v8, v9, v8
	v_mul_lo_u32 v9, s0, v1
	v_add_nc_u32_e32 v8, v8, v10
	v_mul_hi_u32 v10, v1, v9
	v_mul_lo_u32 v11, v1, v8
	v_mul_hi_u32 v12, v1, v8
	v_mul_hi_u32 v13, v5, v9
	v_mul_lo_u32 v9, v5, v9
	v_mul_hi_u32 v14, v5, v8
	v_mul_lo_u32 v8, v5, v8
	v_add_co_u32 v10, vcc_lo, v10, v11
	v_add_co_ci_u32_e32 v11, vcc_lo, 0, v12, vcc_lo
	v_add_co_u32 v9, vcc_lo, v10, v9
	v_add_co_ci_u32_e32 v9, vcc_lo, v11, v13, vcc_lo
	v_add_co_ci_u32_e32 v10, vcc_lo, 0, v14, vcc_lo
	v_add_co_u32 v8, vcc_lo, v9, v8
	v_add_co_ci_u32_e32 v9, vcc_lo, 0, v10, vcc_lo
	v_add_co_u32 v1, vcc_lo, v1, v8
	v_add_co_ci_u32_e32 v5, vcc_lo, v5, v9, vcc_lo
	v_mul_hi_u32 v8, s0, v1
	v_mul_lo_u32 v10, s26, v1
	v_mul_lo_u32 v9, s0, v5
	v_add_nc_u32_e32 v8, v8, v9
	v_mul_lo_u32 v9, s0, v1
	v_add_nc_u32_e32 v8, v8, v10
	v_mul_hi_u32 v10, v1, v9
	v_mul_lo_u32 v11, v1, v8
	v_mul_hi_u32 v12, v1, v8
	v_mul_hi_u32 v13, v5, v9
	v_mul_lo_u32 v9, v5, v9
	v_mul_hi_u32 v14, v5, v8
	v_mul_lo_u32 v8, v5, v8
	v_add_co_u32 v10, vcc_lo, v10, v11
	v_add_co_ci_u32_e32 v11, vcc_lo, 0, v12, vcc_lo
	v_add_co_u32 v9, vcc_lo, v10, v9
	v_add_co_ci_u32_e32 v9, vcc_lo, v11, v13, vcc_lo
	v_add_co_ci_u32_e32 v10, vcc_lo, 0, v14, vcc_lo
	v_add_co_u32 v8, vcc_lo, v9, v8
	v_add_co_ci_u32_e32 v9, vcc_lo, 0, v10, vcc_lo
	v_add_co_u32 v1, vcc_lo, v1, v8
	v_add_co_ci_u32_e32 v5, vcc_lo, v5, v9, vcc_lo
	v_mul_hi_u32 v14, v6, v1
	v_mad_u64_u32 v[10:11], null, v7, v1, 0
	v_mad_u64_u32 v[8:9], null, v6, v5, 0
	v_mad_u64_u32 v[12:13], null, v7, v5, 0
	v_add_co_u32 v1, vcc_lo, v14, v8
	v_add_co_ci_u32_e32 v5, vcc_lo, 0, v9, vcc_lo
	v_add_co_u32 v1, vcc_lo, v1, v10
	v_add_co_ci_u32_e32 v1, vcc_lo, v5, v11, vcc_lo
	v_add_co_ci_u32_e32 v5, vcc_lo, 0, v13, vcc_lo
	v_add_co_u32 v1, vcc_lo, v1, v12
	v_add_co_ci_u32_e32 v5, vcc_lo, 0, v5, vcc_lo
	v_mul_lo_u32 v10, s25, v1
	v_mad_u64_u32 v[8:9], null, s24, v1, 0
	v_mul_lo_u32 v11, s24, v5
	v_sub_co_u32 v8, vcc_lo, v6, v8
	v_add3_u32 v9, v9, v11, v10
	v_sub_nc_u32_e32 v10, v7, v9
	v_subrev_co_ci_u32_e64 v10, s0, s25, v10, vcc_lo
	v_add_co_u32 v11, s0, v1, 2
	v_add_co_ci_u32_e64 v12, s0, 0, v5, s0
	v_sub_co_u32 v13, s0, v8, s24
	v_sub_co_ci_u32_e32 v9, vcc_lo, v7, v9, vcc_lo
	v_subrev_co_ci_u32_e64 v10, s0, 0, v10, s0
	v_cmp_le_u32_e32 vcc_lo, s24, v13
	v_cmp_eq_u32_e64 s0, s25, v9
	v_cndmask_b32_e64 v13, 0, -1, vcc_lo
	v_cmp_le_u32_e32 vcc_lo, s25, v10
	v_cndmask_b32_e64 v14, 0, -1, vcc_lo
	v_cmp_le_u32_e32 vcc_lo, s24, v8
	;; [unrolled: 2-line block ×3, first 2 shown]
	v_cndmask_b32_e64 v15, 0, -1, vcc_lo
	v_cmp_eq_u32_e32 vcc_lo, s25, v10
	v_cndmask_b32_e64 v8, v15, v8, s0
	v_cndmask_b32_e32 v10, v14, v13, vcc_lo
	v_add_co_u32 v13, vcc_lo, v1, 1
	v_add_co_ci_u32_e32 v14, vcc_lo, 0, v5, vcc_lo
	v_cmp_ne_u32_e32 vcc_lo, 0, v10
	v_cndmask_b32_e32 v9, v14, v12, vcc_lo
	v_cndmask_b32_e32 v10, v13, v11, vcc_lo
	v_cmp_ne_u32_e32 vcc_lo, 0, v8
	v_cndmask_b32_e32 v25, v5, v9, vcc_lo
	v_cndmask_b32_e32 v24, v1, v10, vcc_lo
.LBB0_4:                                ;   in Loop: Header=BB0_2 Depth=1
	s_andn2_saveexec_b32 s0, s1
	s_cbranch_execz .LBB0_6
; %bb.5:                                ;   in Loop: Header=BB0_2 Depth=1
	v_cvt_f32_u32_e32 v1, s24
	s_sub_i32 s1, 0, s24
	v_mov_b32_e32 v25, v4
	v_rcp_iflag_f32_e32 v1, v1
	v_mul_f32_e32 v1, 0x4f7ffffe, v1
	v_cvt_u32_f32_e32 v1, v1
	v_mul_lo_u32 v5, s1, v1
	v_mul_hi_u32 v5, v1, v5
	v_add_nc_u32_e32 v1, v1, v5
	v_mul_hi_u32 v1, v6, v1
	v_mul_lo_u32 v5, v1, s24
	v_add_nc_u32_e32 v8, 1, v1
	v_sub_nc_u32_e32 v5, v6, v5
	v_subrev_nc_u32_e32 v9, s24, v5
	v_cmp_le_u32_e32 vcc_lo, s24, v5
	v_cndmask_b32_e32 v5, v5, v9, vcc_lo
	v_cndmask_b32_e32 v1, v1, v8, vcc_lo
	v_cmp_le_u32_e32 vcc_lo, s24, v5
	v_add_nc_u32_e32 v8, 1, v1
	v_cndmask_b32_e32 v24, v1, v8, vcc_lo
.LBB0_6:                                ;   in Loop: Header=BB0_2 Depth=1
	s_or_b32 exec_lo, exec_lo, s0
	v_mul_lo_u32 v1, v25, s24
	v_mul_lo_u32 v5, v24, s25
	s_load_dwordx2 s[0:1], s[6:7], 0x0
	v_mad_u64_u32 v[8:9], null, v24, s24, 0
	s_load_dwordx2 s[24:25], s[2:3], 0x0
	s_add_u32 s22, s22, 1
	s_addc_u32 s23, s23, 0
	s_add_u32 s2, s2, 8
	s_addc_u32 s3, s3, 0
	s_add_u32 s6, s6, 8
	v_add3_u32 v1, v9, v5, v1
	v_sub_co_u32 v5, vcc_lo, v6, v8
	s_addc_u32 s7, s7, 0
	s_add_u32 s20, s20, 8
	v_sub_co_ci_u32_e32 v1, vcc_lo, v7, v1, vcc_lo
	s_addc_u32 s21, s21, 0
	s_waitcnt lgkmcnt(0)
	v_mul_lo_u32 v6, s0, v1
	v_mul_lo_u32 v7, s1, v5
	v_mad_u64_u32 v[2:3], null, s0, v5, v[2:3]
	v_mul_lo_u32 v1, s24, v1
	v_mul_lo_u32 v8, s25, v5
	v_mad_u64_u32 v[20:21], null, s24, v5, v[20:21]
	v_cmp_ge_u64_e64 s0, s[22:23], s[14:15]
	v_add3_u32 v3, v7, v3, v6
	v_add3_u32 v21, v8, v21, v1
	s_and_b32 vcc_lo, exec_lo, s0
	s_cbranch_vccnz .LBB0_9
; %bb.7:                                ;   in Loop: Header=BB0_2 Depth=1
	v_mov_b32_e32 v6, v24
	v_mov_b32_e32 v7, v25
	s_branch .LBB0_2
.LBB0_8:
	v_mov_b32_e32 v21, v3
	v_mov_b32_e32 v25, v7
	;; [unrolled: 1-line block ×4, first 2 shown]
.LBB0_9:
	s_load_dwordx2 s[0:1], s[4:5], 0x28
	v_mul_hi_u32 v5, 0x21d9eae, v0
	s_lshl_b64 s[4:5], s[14:15], 3
                                        ; implicit-def: $sgpr6_sgpr7
                                        ; implicit-def: $vgpr1
	s_add_u32 s2, s18, s4
	s_addc_u32 s3, s19, s5
	s_waitcnt lgkmcnt(0)
	v_cmp_gt_u64_e32 vcc_lo, s[0:1], v[24:25]
	v_cmp_le_u64_e64 s0, s[0:1], v[24:25]
	s_and_saveexec_b32 s1, s0
	s_xor_b32 s0, exec_lo, s1
; %bb.10:
	v_mul_u32_u24_e32 v1, 0x79, v5
	s_mov_b64 s[6:7], 0
                                        ; implicit-def: $vgpr5
                                        ; implicit-def: $vgpr2_vgpr3
	v_sub_nc_u32_e32 v1, v0, v1
                                        ; implicit-def: $vgpr0
; %bb.11:
	s_or_saveexec_b32 s1, s0
	v_mov_b32_e32 v23, s7
	v_mov_b32_e32 v16, s7
	;; [unrolled: 1-line block ×4, first 2 shown]
                                        ; implicit-def: $vgpr31
                                        ; implicit-def: $vgpr18
                                        ; implicit-def: $vgpr12
                                        ; implicit-def: $vgpr8
                                        ; implicit-def: $vgpr4
                                        ; implicit-def: $vgpr29
                                        ; implicit-def: $vgpr27
                                        ; implicit-def: $vgpr14
                                        ; implicit-def: $vgpr10
                                        ; implicit-def: $vgpr6
	s_xor_b32 exec_lo, exec_lo, s1
	s_cbranch_execz .LBB0_13
; %bb.12:
	s_add_u32 s4, s16, s4
	s_addc_u32 s5, s17, s5
	v_lshlrev_b64 v[2:3], 3, v[2:3]
	s_load_dwordx2 s[4:5], s[4:5], 0x0
	s_waitcnt lgkmcnt(0)
	v_mul_lo_u32 v1, s5, v24
	v_mul_lo_u32 v4, s4, v25
	v_mad_u64_u32 v[6:7], null, s4, v24, 0
	v_add3_u32 v7, v7, v4, v1
	v_mul_u32_u24_e32 v1, 0x79, v5
	v_lshlrev_b64 v[4:5], 3, v[6:7]
	v_sub_nc_u32_e32 v1, v0, v1
	v_add_co_u32 v0, s0, s8, v4
	v_add_co_ci_u32_e64 v4, s0, s9, v5, s0
	v_lshlrev_b32_e32 v5, 3, v1
	v_add_co_u32 v0, s0, v0, v2
	v_add_co_ci_u32_e64 v3, s0, v4, v3, s0
	v_add_co_u32 v2, s0, v0, v5
	v_add_co_ci_u32_e64 v3, s0, 0, v3, s0
	;; [unrolled: 2-line block ×6, first 2 shown]
	s_clause 0xa
	global_load_dwordx2 v[15:16], v[2:3], off
	global_load_dwordx2 v[30:31], v[2:3], off offset:968
	global_load_dwordx2 v[17:18], v[2:3], off offset:1936
	;; [unrolled: 1-line block ×10, first 2 shown]
	v_mov_b32_e32 v2, 0
	v_mov_b32_e32 v23, v2
	v_mov_b32_e32 v22, v1
.LBB0_13:
	s_or_b32 exec_lo, exec_lo, s1
	s_waitcnt vmcnt(9)
	v_add_f32_e32 v0, v30, v15
	v_add_f32_e32 v2, v31, v16
	v_and_b32_e32 v19, 1, v19
	s_waitcnt vmcnt(0)
	v_add_f32_e32 v32, v30, v28
	v_add_f32_e32 v33, v31, v29
	;; [unrolled: 1-line block ×4, first 2 shown]
	v_cmp_eq_u32_e64 s0, 1, v19
	v_sub_f32_e32 v30, v30, v28
	v_sub_f32_e32 v31, v31, v29
	v_add_f32_e32 v34, v11, v0
	v_add_f32_e32 v2, v12, v2
	v_add_f32_e32 v49, v17, v26
	v_mul_f32_e32 v35, 0xbf0a6770, v30
	v_mul_f32_e32 v36, 0x3ed4b147, v32
	v_add_f32_e32 v19, v7, v34
	v_add_f32_e32 v2, v8, v2
	v_mul_f32_e32 v34, 0x3f575c64, v32
	v_mul_f32_e32 v37, 0xbf68dda4, v30
	;; [unrolled: 1-line block ×3, first 2 shown]
	v_add_f32_e32 v19, v3, v19
	v_add_f32_e32 v2, v4, v2
	v_fmamk_f32 v39, v31, 0x3f0a6770, v34
	v_mul_f32_e32 v44, 0xbf27a4f4, v32
	v_mul_f32_e32 v45, 0xbf4178ce, v30
	v_add_f32_e32 v19, v5, v19
	v_add_f32_e32 v2, v6, v2
	v_mul_f32_e32 v32, 0xbf75a155, v32
	v_sub_f32_e32 v51, v18, v27
	v_mul_f32_e32 v52, 0x3ed4b147, v49
	v_add_f32_e32 v19, v9, v19
	v_add_f32_e32 v2, v10, v2
	v_sub_f32_e32 v17, v17, v26
	v_fmamk_f32 v40, v33, 0x3f575c64, v35
	v_fmac_f32_e32 v34, 0xbf0a6770, v31
	v_add_f32_e32 v19, v13, v19
	v_add_f32_e32 v2, v14, v2
	v_fma_f32 v35, 0x3f575c64, v33, -v35
	v_fmamk_f32 v41, v31, 0x3f68dda4, v36
	v_fmamk_f32 v42, v33, 0x3ed4b147, v37
	v_add_f32_e32 v19, v26, v19
	v_add_f32_e32 v2, v27, v2
	v_fmac_f32_e32 v36, 0xbf68dda4, v31
	v_fma_f32 v37, 0x3ed4b147, v33, -v37
	v_add_f32_e32 v39, v39, v15
	v_add_f32_e32 v28, v28, v19
	;; [unrolled: 1-line block ×3, first 2 shown]
	v_mul_f32_e32 v29, 0xbf7d64f0, v30
	v_mul_f32_e32 v30, 0xbe903f40, v30
	v_fmamk_f32 v2, v31, 0x3f7d64f0, v38
	v_fmac_f32_e32 v38, 0xbf7d64f0, v31
	v_fmamk_f32 v46, v31, 0x3f4178ce, v44
	v_fmamk_f32 v43, v33, 0xbe11bafb, v29
	v_fma_f32 v29, 0xbe11bafb, v33, -v29
	v_fmamk_f32 v47, v33, 0xbf27a4f4, v45
	v_fmac_f32_e32 v44, 0xbf4178ce, v31
	v_fma_f32 v45, 0xbf27a4f4, v33, -v45
	v_fmamk_f32 v48, v31, 0x3e903f40, v32
	v_fmamk_f32 v50, v33, 0xbf75a155, v30
	v_fmac_f32_e32 v32, 0xbe903f40, v31
	v_fma_f32 v26, 0xbf75a155, v33, -v30
	v_add_f32_e32 v18, v18, v27
	v_fmamk_f32 v27, v51, 0x3f68dda4, v52
	v_mul_f32_e32 v30, 0xbf68dda4, v17
	v_add_f32_e32 v40, v40, v16
	v_add_f32_e32 v34, v34, v15
	;; [unrolled: 1-line block ×20, first 2 shown]
	v_fmamk_f32 v27, v18, 0x3ed4b147, v30
	v_mul_f32_e32 v32, 0xbf27a4f4, v49
	v_fma_f32 v30, 0x3ed4b147, v18, -v30
	v_mul_f32_e32 v33, 0xbf4178ce, v17
	v_mul_f32_e32 v50, 0x3f7d64f0, v17
	v_add_f32_e32 v27, v27, v40
	v_fmamk_f32 v39, v51, 0x3f4178ce, v32
	v_add_f32_e32 v30, v30, v35
	v_fmamk_f32 v35, v18, 0xbf27a4f4, v33
	v_mul_f32_e32 v40, 0xbf75a155, v49
	v_fmac_f32_e32 v32, 0xbf4178ce, v51
	v_add_f32_e32 v39, v39, v41
	v_fma_f32 v33, 0xbf27a4f4, v18, -v33
	v_add_f32_e32 v35, v35, v42
	v_fmamk_f32 v41, v51, 0xbe903f40, v40
	v_mul_f32_e32 v42, 0x3e903f40, v17
	v_add_f32_e32 v32, v32, v36
	v_mul_f32_e32 v36, 0xbe11bafb, v49
	v_add_f32_e32 v33, v33, v37
	v_add_f32_e32 v2, v41, v2
	v_fmamk_f32 v37, v18, 0xbf75a155, v42
	v_fmac_f32_e32 v40, 0x3e903f40, v51
	v_fma_f32 v41, 0xbf75a155, v18, -v42
	v_fmamk_f32 v42, v51, 0xbf7d64f0, v36
	v_fmac_f32_e32 v36, 0x3f7d64f0, v51
	v_add_f32_e32 v37, v37, v43
	v_add_f32_e32 v38, v40, v38
	;; [unrolled: 1-line block ×4, first 2 shown]
	v_mul_f32_e32 v42, 0x3f575c64, v49
	v_fmamk_f32 v41, v18, 0xbe11bafb, v50
	v_mul_f32_e32 v17, 0x3f0a6770, v17
	v_fma_f32 v43, 0xbe11bafb, v18, -v50
	v_add_f32_e32 v36, v36, v44
	v_fmamk_f32 v46, v51, 0xbf0a6770, v42
	v_add_f32_e32 v44, v11, v13
	v_sub_f32_e32 v11, v11, v13
	v_add_f32_e32 v41, v41, v47
	v_fmamk_f32 v47, v18, 0x3f575c64, v17
	v_add_f32_e32 v43, v43, v45
	v_add_f32_e32 v45, v46, v48
	v_sub_f32_e32 v13, v12, v14
	v_mul_f32_e32 v46, 0xbe11bafb, v44
	v_fmac_f32_e32 v42, 0x3f0a6770, v51
	v_fma_f32 v17, 0x3f575c64, v18, -v17
	v_add_f32_e32 v12, v12, v14
	v_mul_f32_e32 v14, 0xbf7d64f0, v11
	v_fmac_f32_e32 v52, 0xbf68dda4, v51
	v_fmamk_f32 v18, v13, 0x3f7d64f0, v46
	v_add_f32_e32 v15, v42, v15
	v_add_f32_e32 v16, v17, v16
	v_mul_f32_e32 v17, 0xbf75a155, v44
	v_fmamk_f32 v42, v12, 0xbe11bafb, v14
	v_add_f32_e32 v34, v52, v34
	v_add_f32_e32 v18, v18, v26
	v_fmac_f32_e32 v46, 0xbf7d64f0, v13
	v_fmamk_f32 v26, v13, 0xbe903f40, v17
	v_add_f32_e32 v27, v42, v27
	v_mul_f32_e32 v42, 0x3e903f40, v11
	v_fmac_f32_e32 v17, 0x3e903f40, v13
	v_add_f32_e32 v34, v46, v34
	v_add_f32_e32 v26, v26, v39
	v_mul_f32_e32 v46, 0x3f68dda4, v11
	v_fmamk_f32 v39, v12, 0xbf75a155, v42
	v_fma_f32 v42, 0xbf75a155, v12, -v42
	v_fma_f32 v14, 0xbe11bafb, v12, -v14
	v_add_f32_e32 v17, v17, v32
	v_add_f32_e32 v31, v47, v31
	;; [unrolled: 1-line block ×4, first 2 shown]
	v_fmamk_f32 v33, v12, 0x3ed4b147, v46
	v_add_f32_e32 v14, v14, v30
	v_mul_f32_e32 v30, 0x3ed4b147, v44
	v_fma_f32 v42, 0x3ed4b147, v12, -v46
	v_mul_f32_e32 v39, 0x3f575c64, v44
	v_add_f32_e32 v33, v33, v37
	v_mul_f32_e32 v37, 0xbf0a6770, v11
	v_fmamk_f32 v47, v13, 0xbf68dda4, v30
	v_fmac_f32_e32 v30, 0x3f68dda4, v13
	v_add_f32_e32 v29, v42, v29
	v_mul_f32_e32 v11, 0xbf4178ce, v11
	v_fmamk_f32 v42, v12, 0x3f575c64, v37
	v_fma_f32 v37, 0x3f575c64, v12, -v37
	v_add_f32_e32 v30, v30, v38
	v_mul_f32_e32 v38, 0xbf27a4f4, v44
	v_fmamk_f32 v46, v13, 0x3f0a6770, v39
	v_add_f32_e32 v41, v42, v41
	v_add_f32_e32 v42, v7, v9
	v_sub_f32_e32 v7, v7, v9
	v_fmac_f32_e32 v39, 0xbf0a6770, v13
	v_fmamk_f32 v44, v13, 0x3f4178ce, v38
	v_add_f32_e32 v37, v37, v43
	v_fmamk_f32 v43, v12, 0xbf27a4f4, v11
	v_fmac_f32_e32 v38, 0xbf4178ce, v13
	v_sub_f32_e32 v9, v8, v10
	v_mul_f32_e32 v13, 0xbf27a4f4, v42
	v_fma_f32 v11, 0xbf27a4f4, v12, -v11
	v_add_f32_e32 v8, v8, v10
	v_mul_f32_e32 v10, 0xbf4178ce, v7
	v_add_f32_e32 v12, v43, v31
	v_fmamk_f32 v31, v9, 0x3f4178ce, v13
	v_add_f32_e32 v15, v38, v15
	v_add_f32_e32 v11, v11, v16
	v_fmamk_f32 v16, v8, 0xbf27a4f4, v10
	v_mul_f32_e32 v38, 0xbe11bafb, v42
	v_fma_f32 v10, 0xbf27a4f4, v8, -v10
	v_add_f32_e32 v18, v31, v18
	v_fmac_f32_e32 v13, 0xbf4178ce, v9
	v_add_f32_e32 v16, v16, v27
	v_fmamk_f32 v27, v9, 0xbf7d64f0, v38
	v_mul_f32_e32 v31, 0x3f7d64f0, v7
	v_add_f32_e32 v10, v10, v14
	v_mul_f32_e32 v14, 0x3f575c64, v42
	v_add_f32_e32 v2, v47, v2
	v_add_f32_e32 v13, v13, v34
	;; [unrolled: 1-line block ×3, first 2 shown]
	v_fmamk_f32 v27, v8, 0xbe11bafb, v31
	v_fmac_f32_e32 v38, 0x3f7d64f0, v9
	v_fma_f32 v31, 0xbe11bafb, v8, -v31
	v_fmamk_f32 v34, v9, 0x3f0a6770, v14
	v_mul_f32_e32 v43, 0xbf0a6770, v7
	v_add_f32_e32 v27, v27, v35
	v_add_f32_e32 v17, v38, v17
	;; [unrolled: 1-line block ×4, first 2 shown]
	v_fmamk_f32 v32, v8, 0x3f575c64, v43
	v_mul_f32_e32 v34, 0xbf75a155, v42
	v_fmac_f32_e32 v14, 0xbf0a6770, v9
	v_fma_f32 v35, 0x3f575c64, v8, -v43
	v_mul_f32_e32 v38, 0xbe903f40, v7
	v_add_f32_e32 v40, v46, v40
	v_add_f32_e32 v36, v39, v36
	;; [unrolled: 1-line block ×3, first 2 shown]
	v_fmamk_f32 v33, v9, 0x3e903f40, v34
	v_add_f32_e32 v14, v14, v30
	v_add_f32_e32 v29, v35, v29
	v_fmamk_f32 v30, v8, 0xbf75a155, v38
	v_mul_f32_e32 v35, 0x3ed4b147, v42
	v_fmac_f32_e32 v34, 0xbe903f40, v9
	v_fma_f32 v38, 0xbf75a155, v8, -v38
	v_add_f32_e32 v39, v44, v45
	v_add_f32_e32 v33, v33, v40
	v_fmamk_f32 v40, v9, 0xbf68dda4, v35
	v_mul_f32_e32 v7, 0x3f68dda4, v7
	v_add_f32_e32 v34, v34, v36
	v_add_f32_e32 v36, v38, v37
	v_add_f32_e32 v37, v3, v5
	v_sub_f32_e32 v3, v3, v5
	v_add_f32_e32 v38, v40, v39
	v_fmamk_f32 v39, v8, 0x3ed4b147, v7
	v_sub_f32_e32 v5, v4, v6
	v_fma_f32 v7, 0x3ed4b147, v8, -v7
	v_add_f32_e32 v4, v4, v6
	v_mul_f32_e32 v6, 0xbe903f40, v3
	v_mul_f32_e32 v40, 0xbf75a155, v37
	v_fmac_f32_e32 v35, 0x3f68dda4, v9
	v_add_f32_e32 v7, v7, v11
	v_add_f32_e32 v9, v39, v12
	v_fmamk_f32 v11, v4, 0xbf75a155, v6
	v_fmamk_f32 v8, v5, 0x3e903f40, v40
	v_add_f32_e32 v12, v35, v15
	v_mul_f32_e32 v15, 0x3f575c64, v37
	v_fma_f32 v6, 0xbf75a155, v4, -v6
	v_add_f32_e32 v11, v11, v16
	v_mul_f32_e32 v16, 0x3f0a6770, v3
	v_add_f32_e32 v8, v8, v18
	v_fmamk_f32 v18, v5, 0xbf0a6770, v15
	v_fmac_f32_e32 v15, 0x3f0a6770, v5
	v_add_f32_e32 v6, v6, v10
	v_fmamk_f32 v35, v4, 0x3f575c64, v16
	v_mul_f32_e32 v10, 0xbf27a4f4, v37
	v_fma_f32 v16, 0x3f575c64, v4, -v16
	v_add_f32_e32 v15, v15, v17
	v_mul_f32_e32 v17, 0x3ed4b147, v37
	v_add_f32_e32 v27, v35, v27
	v_mul_f32_e32 v35, 0xbf4178ce, v3
	v_add_f32_e32 v18, v18, v26
	v_fmamk_f32 v26, v5, 0x3f4178ce, v10
	v_add_f32_e32 v16, v16, v31
	v_fmac_f32_e32 v10, 0xbf4178ce, v5
	v_fma_f32 v31, 0xbf27a4f4, v4, -v35
	v_fmamk_f32 v39, v5, 0xbf68dda4, v17
	v_add_f32_e32 v2, v26, v2
	v_fmamk_f32 v26, v4, 0xbf27a4f4, v35
	v_mul_f32_e32 v35, 0x3f68dda4, v3
	v_add_f32_e32 v10, v10, v14
	v_add_f32_e32 v14, v31, v29
	;; [unrolled: 1-line block ×3, first 2 shown]
	v_and_b32_e32 v33, 0xff, v1
	v_add_f32_e32 v30, v30, v41
	v_add_f32_e32 v26, v26, v32
	v_fmamk_f32 v29, v4, 0x3ed4b147, v35
	v_mul_f32_e32 v32, 0xbe11bafb, v37
	v_mul_lo_u16 v33, 0x75, v33
	v_cndmask_b32_e64 v0, 0, 0x14cc, s0
	v_fmac_f32_e32 v17, 0x3f68dda4, v5
	v_add_f32_e32 v29, v29, v30
	v_fma_f32 v30, 0x3ed4b147, v4, -v35
	v_fmamk_f32 v35, v5, 0x3f7d64f0, v32
	v_mul_f32_e32 v3, 0xbf7d64f0, v3
	v_lshrrev_b16 v33, 8, v33
	v_fmac_f32_e32 v40, 0xbe903f40, v5
	v_add_f32_e32 v17, v17, v34
	v_add_f32_e32 v43, v30, v36
	;; [unrolled: 1-line block ×3, first 2 shown]
	v_add_nc_u32_e32 v34, 0, v0
	v_fmamk_f32 v35, v4, 0xbe11bafb, v3
	v_fmac_f32_e32 v32, 0xbf7d64f0, v5
	v_fma_f32 v3, 0xbe11bafb, v4, -v3
	v_sub_nc_u16 v5, v1, v33
	v_mad_u32_u24 v4, v1, 44, v34
	s_load_dwordx2 s[2:3], s[2:3], 0x0
	v_add_f32_e32 v12, v32, v12
	v_add_f32_e32 v7, v3, v7
	v_lshrrev_b16 v3, 1, v5
	ds_write2_b32 v4, v28, v8 offset1:1
	ds_write2_b32 v4, v18, v2 offset0:2 offset1:3
	ds_write2_b32 v4, v31, v30 offset0:4 offset1:5
	;; [unrolled: 1-line block ×4, first 2 shown]
	v_mad_i32_i24 v39, 0xffffffd8, v1, v4
	v_mov_b32_e32 v5, 10
	v_and_b32_e32 v2, 0x7f, v3
	v_add_f32_e32 v13, v40, v13
	v_lshl_add_u32 v42, v1, 2, v34
	v_add_nc_u32_e32 v36, 0x400, v39
	v_add_f32_e32 v9, v35, v9
	v_add_nc_u16 v2, v2, v33
	v_add_nc_u32_e32 v44, 0x800, v39
	v_add_nc_u32_e32 v38, 0xc00, v39
	;; [unrolled: 1-line block ×3, first 2 shown]
	ds_write_b32 v4, v13 offset:40
	v_lshrrev_b16 v2, 3, v2
	s_waitcnt lgkmcnt(0)
	s_barrier
	buffer_gl0_inv
	ds_read_b32 v57, v42
	ds_read2_b32 v[30:31], v39 offset0:121 offset1:242
	v_mul_lo_u16 v3, v2, 11
	ds_read2_b32 v[32:33], v36 offset0:107 offset1:228
	ds_read2_b32 v[34:35], v44 offset0:93 offset1:214
	;; [unrolled: 1-line block ×4, first 2 shown]
	s_waitcnt lgkmcnt(0)
	s_barrier
	buffer_gl0_inv
	v_sub_nc_u16 v3, v1, v3
	ds_write2_b32 v4, v19, v11 offset1:1
	ds_write2_b32 v4, v27, v26 offset0:2 offset1:3
	ds_write2_b32 v4, v29, v9 offset0:4 offset1:5
	;; [unrolled: 1-line block ×4, first 2 shown]
	ds_write_b32 v4, v6 offset:40
	s_waitcnt lgkmcnt(0)
	v_mul_u32_u24_sdwa v5, v3, v5 dst_sel:DWORD dst_unused:UNUSED_PAD src0_sel:BYTE_0 src1_sel:DWORD
	s_barrier
	buffer_gl0_inv
	v_and_b32_e32 v2, 0xffff, v2
	v_lshlrev_b32_e32 v26, 3, v5
	s_clause 0x4
	global_load_dwordx4 v[4:7], v26, s[12:13]
	global_load_dwordx4 v[8:11], v26, s[12:13] offset:16
	global_load_dwordx4 v[12:15], v26, s[12:13] offset:32
	;; [unrolled: 1-line block ×4, first 2 shown]
	ds_read2_b32 v[47:48], v39 offset0:121 offset1:242
	ds_read2_b32 v[49:50], v36 offset0:107 offset1:228
	;; [unrolled: 1-line block ×5, first 2 shown]
	ds_read_b32 v43, v42
	v_mad_u32_u24 v2, 0x1e4, v2, 0
	s_waitcnt vmcnt(0) lgkmcnt(0)
	s_barrier
	buffer_gl0_inv
	v_mul_f32_e32 v58, v47, v5
	v_mul_f32_e32 v5, v30, v5
	;; [unrolled: 1-line block ×10, first 2 shown]
	v_fmac_f32_e32 v5, v47, v4
	v_mul_f32_e32 v60, v49, v9
	v_mul_f32_e32 v9, v32, v9
	;; [unrolled: 1-line block ×6, first 2 shown]
	v_fma_f32 v30, v30, v4, -v58
	v_fma_f32 v31, v31, v6, -v59
	v_fmac_f32_e32 v7, v48, v6
	v_fma_f32 v6, v33, v10, -v61
	v_fmac_f32_e32 v11, v50, v10
	;; [unrolled: 2-line block ×4, first 2 shown]
	v_add_f32_e32 v18, v43, v5
	v_fma_f32 v4, v32, v8, -v60
	v_fmac_f32_e32 v9, v49, v8
	v_fma_f32 v8, v34, v12, -v62
	v_fmac_f32_e32 v13, v51, v12
	;; [unrolled: 2-line block ×3, first 2 shown]
	v_add_f32_e32 v16, v57, v30
	v_add_f32_e32 v18, v18, v7
	v_mul_f32_e32 v67, v56, v29
	v_mul_f32_e32 v29, v46, v29
	;; [unrolled: 1-line block ×3, first 2 shown]
	v_add_f32_e32 v16, v16, v31
	v_add_f32_e32 v18, v18, v9
	v_mul_f32_e32 v27, v45, v27
	v_fma_f32 v33, v46, v28, -v67
	v_fmac_f32_e32 v29, v56, v28
	v_add_f32_e32 v16, v16, v4
	v_add_f32_e32 v18, v18, v11
	v_fma_f32 v32, v45, v26, -v66
	v_fmac_f32_e32 v27, v55, v26
	v_add_f32_e32 v26, v30, v33
	v_add_f32_e32 v16, v16, v6
	;; [unrolled: 1-line block ×3, first 2 shown]
	v_sub_f32_e32 v28, v5, v29
	v_sub_f32_e32 v30, v30, v33
	v_add_f32_e32 v5, v5, v29
	v_add_f32_e32 v16, v16, v8
	;; [unrolled: 1-line block ×3, first 2 shown]
	v_mul_f32_e32 v34, 0xbf0a6770, v28
	v_mul_f32_e32 v41, 0xbf68dda4, v30
	;; [unrolled: 1-line block ×3, first 2 shown]
	v_add_f32_e32 v16, v16, v10
	v_add_f32_e32 v18, v18, v17
	v_sub_f32_e32 v56, v7, v27
	v_mul_f32_e32 v35, 0xbf0a6770, v30
	v_mul_f32_e32 v40, 0xbf68dda4, v28
	v_add_f32_e32 v16, v16, v12
	v_add_f32_e32 v18, v18, v19
	v_fma_f32 v46, 0x3f575c64, v26, -v34
	v_fmamk_f32 v49, v5, 0x3ed4b147, v41
	v_fma_f32 v50, 0xbe11bafb, v26, -v45
	v_add_f32_e32 v16, v16, v14
	v_add_f32_e32 v18, v18, v27
	v_mul_f32_e32 v51, 0xbf4178ce, v28
	v_mul_f32_e32 v52, 0xbf4178ce, v30
	;; [unrolled: 1-line block ×3, first 2 shown]
	v_add_f32_e32 v16, v16, v32
	v_add_f32_e32 v18, v18, v29
	v_mul_f32_e32 v29, 0xbf7d64f0, v30
	v_mul_f32_e32 v30, 0xbe903f40, v30
	v_add_f32_e32 v59, v31, v32
	v_mul_f32_e32 v60, 0xbf68dda4, v56
	v_sub_f32_e32 v31, v31, v32
	v_fmamk_f32 v47, v5, 0x3f575c64, v35
	v_fmac_f32_e32 v34, 0x3f575c64, v26
	v_fma_f32 v35, 0x3f575c64, v5, -v35
	v_fma_f32 v48, 0x3ed4b147, v26, -v40
	v_fmac_f32_e32 v40, 0x3ed4b147, v26
	v_fma_f32 v41, 0x3ed4b147, v5, -v41
	v_add_f32_e32 v46, v57, v46
	v_add_f32_e32 v16, v16, v33
	;; [unrolled: 1-line block ×4, first 2 shown]
	v_fmamk_f32 v50, v5, 0xbe11bafb, v29
	v_fmac_f32_e32 v45, 0xbe11bafb, v26
	v_fma_f32 v29, 0xbe11bafb, v5, -v29
	v_fma_f32 v53, 0xbf27a4f4, v26, -v51
	v_fmamk_f32 v54, v5, 0xbf27a4f4, v52
	v_fmac_f32_e32 v51, 0xbf27a4f4, v26
	v_fma_f32 v52, 0xbf27a4f4, v5, -v52
	v_fma_f32 v55, 0xbf75a155, v26, -v28
	v_fmamk_f32 v58, v5, 0xbf75a155, v30
	v_fmac_f32_e32 v28, 0xbf75a155, v26
	v_fma_f32 v5, 0xbf75a155, v5, -v30
	v_add_f32_e32 v7, v7, v27
	v_fma_f32 v26, 0x3ed4b147, v59, -v60
	v_mul_f32_e32 v27, 0xbf68dda4, v31
	v_add_f32_e32 v47, v43, v47
	v_add_f32_e32 v35, v43, v35
	;; [unrolled: 1-line block ×10, first 2 shown]
	v_fmamk_f32 v32, v7, 0x3ed4b147, v27
	v_mul_f32_e32 v43, 0xbf4178ce, v56
	v_fma_f32 v27, 0x3ed4b147, v7, -v27
	v_mul_f32_e32 v46, 0xbf4178ce, v31
	v_add_f32_e32 v34, v57, v34
	v_add_f32_e32 v48, v57, v48
	;; [unrolled: 1-line block ×9, first 2 shown]
	v_fma_f32 v47, 0xbf27a4f4, v59, -v43
	v_add_f32_e32 v27, v27, v35
	v_fmamk_f32 v35, v7, 0xbf27a4f4, v46
	v_mul_f32_e32 v57, 0x3e903f40, v56
	v_fmac_f32_e32 v43, 0xbf27a4f4, v59
	v_add_f32_e32 v47, v47, v48
	v_fma_f32 v46, 0xbf27a4f4, v7, -v46
	v_add_f32_e32 v33, v35, v33
	v_fma_f32 v35, 0xbf75a155, v59, -v57
	v_mul_f32_e32 v48, 0x3e903f40, v31
	v_add_f32_e32 v40, v43, v40
	v_mul_f32_e32 v43, 0x3f7d64f0, v56
	v_add_f32_e32 v41, v46, v41
	v_add_f32_e32 v35, v35, v49
	v_fmamk_f32 v46, v7, 0xbf75a155, v48
	v_fma_f32 v48, 0xbf75a155, v7, -v48
	v_fma_f32 v49, 0xbe11bafb, v59, -v43
	v_mul_f32_e32 v58, 0x3f7d64f0, v31
	v_fmac_f32_e32 v43, 0xbe11bafb, v59
	v_add_f32_e32 v46, v46, v50
	v_add_f32_e32 v29, v48, v29
	;; [unrolled: 1-line block ×3, first 2 shown]
	v_fmamk_f32 v49, v7, 0xbe11bafb, v58
	v_mul_f32_e32 v50, 0x3f0a6770, v56
	v_fma_f32 v53, 0xbe11bafb, v7, -v58
	v_mul_f32_e32 v31, 0x3f0a6770, v31
	v_add_f32_e32 v43, v43, v51
	v_add_f32_e32 v49, v49, v54
	v_fma_f32 v54, 0x3f575c64, v59, -v50
	v_add_f32_e32 v51, v53, v52
	v_sub_f32_e32 v52, v9, v19
	v_fmamk_f32 v56, v7, 0x3f575c64, v31
	v_fmac_f32_e32 v50, 0x3f575c64, v59
	v_add_f32_e32 v53, v54, v55
	v_add_f32_e32 v54, v4, v14
	v_sub_f32_e32 v4, v4, v14
	v_mul_f32_e32 v14, 0xbf7d64f0, v52
	v_fma_f32 v7, 0x3f575c64, v7, -v31
	v_add_f32_e32 v9, v9, v19
	v_fmac_f32_e32 v60, 0x3ed4b147, v59
	v_mul_f32_e32 v19, 0xbf7d64f0, v4
	v_fma_f32 v31, 0xbe11bafb, v54, -v14
	v_add_f32_e32 v28, v50, v28
	v_add_f32_e32 v5, v7, v5
	v_mul_f32_e32 v7, 0x3e903f40, v52
	v_fmamk_f32 v50, v9, 0xbe11bafb, v19
	v_add_f32_e32 v34, v60, v34
	v_add_f32_e32 v26, v31, v26
	v_fmac_f32_e32 v14, 0xbe11bafb, v54
	v_fma_f32 v19, 0xbe11bafb, v9, -v19
	v_fma_f32 v31, 0xbf75a155, v54, -v7
	v_add_f32_e32 v32, v50, v32
	v_mul_f32_e32 v50, 0x3e903f40, v4
	v_add_f32_e32 v14, v14, v34
	v_add_f32_e32 v19, v19, v27
	;; [unrolled: 1-line block ×3, first 2 shown]
	v_fmac_f32_e32 v7, 0xbf75a155, v54
	v_fmamk_f32 v34, v9, 0xbf75a155, v50
	v_fma_f32 v47, 0xbf75a155, v9, -v50
	v_mul_f32_e32 v50, 0x3f68dda4, v4
	v_fmac_f32_e32 v57, 0xbf75a155, v59
	v_mul_f32_e32 v31, 0x3f68dda4, v52
	v_add_f32_e32 v7, v7, v40
	v_add_f32_e32 v33, v34, v33
	v_fmamk_f32 v40, v9, 0x3ed4b147, v50
	v_add_f32_e32 v45, v57, v45
	v_fma_f32 v55, 0x3ed4b147, v54, -v31
	v_add_f32_e32 v34, v47, v41
	v_mul_f32_e32 v41, 0xbf0a6770, v52
	v_fmac_f32_e32 v31, 0x3ed4b147, v54
	v_fma_f32 v47, 0x3ed4b147, v9, -v50
	v_add_f32_e32 v40, v40, v46
	v_mul_f32_e32 v46, 0xbf0a6770, v4
	v_fma_f32 v50, 0x3f575c64, v54, -v41
	v_add_f32_e32 v31, v31, v45
	v_add_f32_e32 v29, v47, v29
	v_mul_f32_e32 v45, 0xbf4178ce, v52
	v_fmamk_f32 v47, v9, 0x3f575c64, v46
	v_fmac_f32_e32 v41, 0x3f575c64, v54
	v_fma_f32 v46, 0x3f575c64, v9, -v46
	v_add_f32_e32 v48, v50, v48
	v_fma_f32 v50, 0xbf27a4f4, v54, -v45
	v_add_f32_e32 v47, v47, v49
	v_mul_f32_e32 v4, 0xbf4178ce, v4
	v_add_f32_e32 v41, v41, v43
	v_add_f32_e32 v43, v46, v51
	v_sub_f32_e32 v49, v11, v17
	v_sub_f32_e32 v51, v6, v12
	v_add_f32_e32 v30, v56, v30
	v_add_f32_e32 v46, v50, v53
	v_fmamk_f32 v50, v9, 0xbf27a4f4, v4
	v_fmac_f32_e32 v45, 0xbf27a4f4, v54
	v_add_f32_e32 v6, v6, v12
	v_mul_f32_e32 v12, 0xbf4178ce, v49
	v_fma_f32 v4, 0xbf27a4f4, v9, -v4
	v_add_f32_e32 v9, v11, v17
	v_mul_f32_e32 v11, 0xbf4178ce, v51
	v_add_f32_e32 v17, v50, v30
	v_fma_f32 v30, 0xbf27a4f4, v6, -v12
	v_add_f32_e32 v28, v45, v28
	v_add_f32_e32 v4, v4, v5
	v_fmamk_f32 v5, v9, 0xbf27a4f4, v11
	v_mul_f32_e32 v45, 0x3f7d64f0, v49
	v_fmac_f32_e32 v12, 0xbf27a4f4, v6
	v_add_f32_e32 v26, v30, v26
	v_fma_f32 v11, 0xbf27a4f4, v9, -v11
	v_add_f32_e32 v5, v5, v32
	v_fma_f32 v30, 0xbe11bafb, v6, -v45
	v_mul_f32_e32 v32, 0x3f7d64f0, v51
	v_add_f32_e32 v12, v12, v14
	v_mul_f32_e32 v14, 0xbf0a6770, v49
	v_add_f32_e32 v35, v55, v35
	v_add_f32_e32 v11, v11, v19
	;; [unrolled: 1-line block ×3, first 2 shown]
	v_fmamk_f32 v27, v9, 0xbe11bafb, v32
	v_fmac_f32_e32 v45, 0xbe11bafb, v6
	v_fma_f32 v30, 0xbe11bafb, v9, -v32
	v_fma_f32 v32, 0x3f575c64, v6, -v14
	v_mul_f32_e32 v50, 0xbf0a6770, v51
	v_add_f32_e32 v27, v27, v33
	v_add_f32_e32 v7, v45, v7
	;; [unrolled: 1-line block ×4, first 2 shown]
	v_fmamk_f32 v33, v9, 0x3f575c64, v50
	v_mul_f32_e32 v34, 0xbe903f40, v49
	v_fmac_f32_e32 v14, 0x3f575c64, v6
	v_mul_f32_e32 v35, 0xbe903f40, v51
	v_fma_f32 v45, 0x3f575c64, v9, -v50
	v_add_f32_e32 v33, v33, v40
	v_fma_f32 v40, 0xbf75a155, v6, -v34
	v_add_f32_e32 v14, v14, v31
	v_fmamk_f32 v31, v9, 0xbf75a155, v35
	v_add_f32_e32 v45, v45, v29
	v_mul_f32_e32 v29, 0x3f68dda4, v49
	v_fmac_f32_e32 v34, 0xbf75a155, v6
	v_add_f32_e32 v40, v40, v48
	v_add_f32_e32 v47, v31, v47
	v_fma_f32 v31, 0xbf75a155, v9, -v35
	v_fma_f32 v35, 0x3ed4b147, v6, -v29
	v_add_f32_e32 v34, v34, v41
	v_sub_f32_e32 v41, v13, v15
	v_mul_f32_e32 v48, 0x3f68dda4, v51
	v_add_f32_e32 v49, v31, v43
	v_add_f32_e32 v31, v35, v46
	;; [unrolled: 1-line block ×3, first 2 shown]
	v_mul_f32_e32 v46, 0xbe903f40, v41
	v_sub_f32_e32 v8, v8, v10
	v_fmamk_f32 v35, v9, 0x3ed4b147, v48
	v_fmac_f32_e32 v29, 0x3ed4b147, v6
	v_fma_f32 v6, 0x3ed4b147, v9, -v48
	v_add_f32_e32 v9, v13, v15
	v_fma_f32 v10, 0xbf75a155, v43, -v46
	v_mul_f32_e32 v13, 0xbe903f40, v8
	v_add_f32_e32 v15, v35, v17
	v_add_f32_e32 v4, v6, v4
	;; [unrolled: 1-line block ×4, first 2 shown]
	v_fmamk_f32 v10, v9, 0xbf75a155, v13
	v_mul_f32_e32 v26, 0x3f0a6770, v41
	v_mul_f32_e32 v28, 0x3f0a6770, v8
	v_fma_f32 v13, 0xbf75a155, v9, -v13
	v_fmac_f32_e32 v46, 0xbf75a155, v43
	v_add_f32_e32 v5, v10, v5
	v_fma_f32 v10, 0x3f575c64, v43, -v26
	v_fmamk_f32 v29, v9, 0x3f575c64, v28
	v_fmac_f32_e32 v26, 0x3f575c64, v43
	v_add_f32_e32 v11, v13, v11
	v_add_f32_e32 v12, v46, v12
	;; [unrolled: 1-line block ×3, first 2 shown]
	v_mul_f32_e32 v19, 0xbf4178ce, v41
	v_add_f32_e32 v13, v29, v27
	v_mul_f32_e32 v27, 0xbf4178ce, v8
	v_add_f32_e32 v7, v26, v7
	v_fma_f32 v26, 0x3f575c64, v9, -v28
	v_fma_f32 v29, 0xbf27a4f4, v43, -v19
	v_mul_f32_e32 v28, 0x3f68dda4, v41
	v_fmamk_f32 v35, v9, 0xbf27a4f4, v27
	v_fmac_f32_e32 v19, 0xbf27a4f4, v43
	v_add_f32_e32 v46, v26, v30
	v_add_f32_e32 v29, v29, v32
	v_mov_b32_e32 v32, 2
	v_mul_f32_e32 v30, 0xbf7d64f0, v41
	v_fma_f32 v26, 0x3ed4b147, v43, -v28
	v_add_f32_e32 v48, v35, v33
	v_add_f32_e32 v14, v19, v14
	v_lshlrev_b32_sdwa v3, v32, v3 dst_sel:DWORD dst_unused:UNUSED_PAD src0_sel:DWORD src1_sel:BYTE_0
	v_fma_f32 v19, 0xbf27a4f4, v9, -v27
	v_mul_f32_e32 v27, 0x3f68dda4, v8
	v_fma_f32 v33, 0xbe11bafb, v43, -v30
	v_fmac_f32_e32 v28, 0x3ed4b147, v43
	v_fmac_f32_e32 v30, 0xbe11bafb, v43
	v_add3_u32 v0, v2, v3, v0
	v_add_f32_e32 v26, v26, v40
	v_fmamk_f32 v40, v9, 0x3ed4b147, v27
	v_fma_f32 v41, 0x3ed4b147, v9, -v27
	v_add_f32_e32 v27, v33, v31
	v_add_f32_e32 v28, v28, v34
	;; [unrolled: 1-line block ×3, first 2 shown]
	ds_write2_b32 v0, v16, v6 offset1:11
	ds_write2_b32 v0, v10, v29 offset0:22 offset1:33
	ds_write2_b32 v0, v26, v27 offset0:44 offset1:55
	;; [unrolled: 1-line block ×4, first 2 shown]
	ds_write_b32 v0, v12 offset:440
	s_waitcnt lgkmcnt(0)
	s_barrier
	buffer_gl0_inv
	ds_read_b32 v43, v42
	ds_read2_b32 v[32:33], v39 offset0:121 offset1:242
	ds_read2_b32 v[28:29], v36 offset0:107 offset1:228
	;; [unrolled: 1-line block ×5, first 2 shown]
	v_mul_f32_e32 v8, 0xbf7d64f0, v8
	v_add_f32_e32 v7, v40, v47
	v_add_f32_e32 v6, v19, v45
	s_waitcnt lgkmcnt(0)
	s_barrier
	v_fmamk_f32 v2, v9, 0xbe11bafb, v8
	v_fma_f32 v3, 0xbe11bafb, v9, -v8
	v_add_f32_e32 v8, v41, v49
	buffer_gl0_inv
	v_add_f32_e32 v2, v2, v15
	v_add_f32_e32 v3, v3, v4
	ds_write2_b32 v0, v18, v5 offset1:11
	ds_write2_b32 v0, v13, v48 offset0:22 offset1:33
	ds_write2_b32 v0, v7, v2 offset0:44 offset1:55
	ds_write2_b32 v0, v3, v8 offset0:66 offset1:77
	ds_write2_b32 v0, v6, v46 offset0:88 offset1:99
	ds_write_b32 v0, v11 offset:440
	s_waitcnt lgkmcnt(0)
	s_barrier
	buffer_gl0_inv
	s_and_saveexec_b32 s0, vcc_lo
	s_cbranch_execz .LBB0_15
; %bb.14:
	v_mul_u32_u24_e32 v0, 10, v1
	v_mul_lo_u32 v45, s3, v24
	v_mul_lo_u32 v25, s2, v25
	v_mad_u64_u32 v[40:41], null, s2, v24, 0
	v_lshlrev_b32_e32 v0, 3, v0
	v_lshlrev_b64 v[20:21], 3, v[20:21]
	s_clause 0x4
	global_load_dwordx4 v[12:15], v0, s[12:13] offset:880
	global_load_dwordx4 v[16:19], v0, s[12:13] offset:944
	global_load_dwordx4 v[4:7], v0, s[12:13] offset:896
	global_load_dwordx4 v[8:11], v0, s[12:13] offset:928
	global_load_dwordx4 v[0:3], v0, s[12:13] offset:912
	v_add3_u32 v41, v41, v25, v45
	ds_read2_b32 v[24:25], v39 offset0:121 offset1:242
	v_lshlrev_b64 v[45:46], 3, v[40:41]
	ds_read2_b32 v[40:41], v37 offset0:65 offset1:186
	ds_read2_b32 v[36:37], v36 offset0:107 offset1:228
	;; [unrolled: 1-line block ×3, first 2 shown]
	ds_read_b32 v42, v42
	v_add_co_u32 v47, vcc_lo, s10, v45
	v_add_co_ci_u32_e32 v48, vcc_lo, s11, v46, vcc_lo
	v_lshlrev_b64 v[45:46], 3, v[22:23]
	ds_read2_b32 v[22:23], v44 offset0:93 offset1:214
	v_add_co_u32 v20, vcc_lo, v47, v20
	v_add_co_ci_u32_e32 v21, vcc_lo, v48, v21, vcc_lo
	v_add_co_u32 v20, vcc_lo, v20, v45
	v_add_co_ci_u32_e32 v21, vcc_lo, v21, v46, vcc_lo
	;; [unrolled: 2-line block ×3, first 2 shown]
	s_waitcnt vmcnt(4) lgkmcnt(5)
	v_mul_f32_e32 v46, v24, v13
	s_waitcnt vmcnt(3) lgkmcnt(4)
	v_mul_f32_e32 v47, v41, v19
	v_mul_f32_e32 v48, v35, v19
	;; [unrolled: 1-line block ×6, first 2 shown]
	s_waitcnt vmcnt(2) lgkmcnt(3)
	v_mul_f32_e32 v17, v36, v5
	s_waitcnt vmcnt(1) lgkmcnt(2)
	v_mul_f32_e32 v51, v39, v11
	v_mul_f32_e32 v52, v31, v11
	;; [unrolled: 1-line block ×7, first 2 shown]
	s_waitcnt vmcnt(0) lgkmcnt(0)
	v_mul_f32_e32 v54, v22, v1
	v_mul_f32_e32 v55, v23, v3
	;; [unrolled: 1-line block ×5, first 2 shown]
	v_fma_f32 v1, v32, v12, -v46
	v_fma_f32 v3, v33, v14, -v19
	;; [unrolled: 1-line block ×4, first 2 shown]
	v_fmac_f32_e32 v48, v18, v41
	v_fmac_f32_e32 v13, v12, v24
	;; [unrolled: 1-line block ×3, first 2 shown]
	v_fma_f32 v12, v28, v4, -v17
	v_fma_f32 v16, v31, v10, -v51
	v_fmac_f32_e32 v52, v10, v39
	v_fmac_f32_e32 v5, v4, v36
	v_fma_f32 v4, v29, v6, -v11
	v_fma_f32 v10, v30, v8, -v53
	v_fmac_f32_e32 v9, v8, v38
	v_fmac_f32_e32 v7, v6, v37
	;; [unrolled: 4-line block ×3, first 2 shown]
	v_fmac_f32_e32 v57, v0, v22
	v_sub_f32_e32 v0, v1, v32
	v_add_f32_e32 v2, v13, v48
	v_sub_f32_e32 v23, v6, v8
	v_sub_f32_e32 v25, v13, v48
	v_add_f32_e32 v26, v1, v32
	v_add_f32_e32 v13, v13, v42
	;; [unrolled: 1-line block ×3, first 2 shown]
	v_sub_f32_e32 v11, v3, v33
	v_sub_f32_e32 v17, v12, v16
	;; [unrolled: 1-line block ×3, first 2 shown]
	v_add_f32_e32 v24, v57, v56
	v_sub_f32_e32 v27, v15, v50
	v_sub_f32_e32 v29, v5, v52
	;; [unrolled: 1-line block ×4, first 2 shown]
	v_mul_f32_e32 v37, 0xbe903f40, v0
	v_mul_f32_e32 v41, 0xbf4178ce, v0
	;; [unrolled: 1-line block ×15, first 2 shown]
	v_add_f32_e32 v13, v13, v15
	v_add_f32_e32 v1, v1, v3
	v_add_f32_e32 v14, v15, v50
	v_add_f32_e32 v18, v5, v52
	v_add_f32_e32 v22, v7, v9
	v_add_f32_e32 v28, v3, v33
	v_add_f32_e32 v30, v12, v16
	v_add_f32_e32 v34, v4, v10
	v_add_f32_e32 v36, v6, v8
	v_mul_f32_e32 v38, 0x3f0a6770, v11
	v_mul_f32_e32 v39, 0xbf4178ce, v17
	;; [unrolled: 1-line block ×35, first 2 shown]
	v_fmamk_f32 v85, v2, 0xbf75a155, v37
	v_fmamk_f32 v88, v2, 0xbf27a4f4, v41
	;; [unrolled: 1-line block ×5, first 2 shown]
	v_fma_f32 v37, 0xbf75a155, v2, -v37
	v_fma_f32 v41, 0xbf27a4f4, v2, -v41
	;; [unrolled: 1-line block ×5, first 2 shown]
	v_fmamk_f32 v107, v24, 0xbf75a155, v23
	v_fma_f32 v108, 0xbf75a155, v24, -v23
	v_fma_f32 v23, 0xbf75a155, v26, -v66
	;; [unrolled: 1-line block ×5, first 2 shown]
	v_add_f32_e32 v2, v13, v5
	v_add_f32_e32 v3, v1, v12
	v_fmamk_f32 v86, v14, 0x3f575c64, v38
	v_fmamk_f32 v87, v18, 0xbf27a4f4, v39
	;; [unrolled: 1-line block ×9, first 2 shown]
	v_fma_f32 v38, 0x3f575c64, v14, -v38
	v_fma_f32 v46, 0xbe11bafb, v14, -v46
	;; [unrolled: 1-line block ×5, first 2 shown]
	v_fmamk_f32 v14, v18, 0xbe11bafb, v17
	v_fma_f32 v39, 0xbf27a4f4, v18, -v39
	v_fma_f32 v47, 0x3f575c64, v18, -v47
	;; [unrolled: 1-line block ×5, first 2 shown]
	v_fmamk_f32 v18, v22, 0x3ed4b147, v40
	v_fma_f32 v40, 0x3ed4b147, v22, -v40
	v_fmamk_f32 v100, v22, 0xbf75a155, v49
	v_fma_f32 v49, 0xbf75a155, v22, -v49
	;; [unrolled: 2-line block ×9, first 2 shown]
	v_fmac_f32_e32 v66, 0xbf75a155, v26
	v_fma_f32 v24, 0xbf27a4f4, v26, -v67
	v_fmac_f32_e32 v67, 0xbf27a4f4, v26
	v_fmac_f32_e32 v68, 0xbe11bafb, v26
	;; [unrolled: 1-line block ×4, first 2 shown]
	v_fma_f32 v26, 0x3f575c64, v28, -v15
	v_fmac_f32_e32 v15, 0x3f575c64, v28
	v_fma_f32 v112, 0xbe11bafb, v28, -v70
	v_fmac_f32_e32 v70, 0xbe11bafb, v28
	;; [unrolled: 2-line block ×20, first 2 shown]
	v_add_f32_e32 v7, v2, v7
	v_add_f32_e32 v36, v3, v4
	v_add_f32_e32 v85, v42, v85
	v_add_f32_e32 v88, v42, v88
	v_add_f32_e32 v91, v42, v91
	v_add_f32_e32 v94, v42, v94
	v_add_f32_e32 v97, v42, v97
	v_add_f32_e32 v37, v42, v37
	v_add_f32_e32 v41, v42, v41
	v_add_f32_e32 v51, v42, v51
	v_add_f32_e32 v58, v42, v58
	v_add_f32_e32 v42, v42, v98
	v_add_f32_e32 v23, v43, v23
	v_add_f32_e32 v98, v43, v109
	v_add_f32_e32 v109, v43, v110
	v_add_f32_e32 v110, v43, v111
	v_add_f32_e32 v24, v43, v24
	v_add_f32_e32 v66, v43, v66
	v_add_f32_e32 v67, v43, v67
	v_add_f32_e32 v68, v43, v68
	v_add_f32_e32 v69, v43, v69
	v_add_f32_e32 v25, v43, v25
	v_add_f32_e32 v43, v85, v86
	v_add_f32_e32 v23, v23, v26
	v_add_f32_e32 v26, v88, v89
	v_add_f32_e32 v85, v91, v92
	v_add_f32_e32 v86, v98, v113
	v_add_f32_e32 v88, v94, v95
	v_add_f32_e32 v91, v97, v99
	v_add_f32_e32 v92, v110, v115
	v_add_f32_e32 v7, v7, v57
	v_add_f32_e32 v6, v36, v6
	v_add_f32_e32 v89, v109, v114
	v_add_f32_e32 v15, v66, v15
	v_add_f32_e32 v11, v42, v11
	v_add_f32_e32 v25, v25, v27
	v_add_f32_e32 v27, v43, v87
	v_add_f32_e32 v12, v23, v12
	v_add_f32_e32 v23, v26, v90
	v_add_f32_e32 v26, v86, v28
	v_add_f32_e32 v28, v88, v96
	v_add_f32_e32 v14, v91, v14
	v_add_f32_e32 v43, v92, v117
	v_add_f32_e32 v7, v7, v56
	v_add_f32_e32 v6, v6, v8
	v_add_f32_e32 v24, v24, v112
	v_add_f32_e32 v36, v37, v38
	v_add_f32_e32 v37, v41, v46
	v_add_f32_e32 v38, v67, v70
	v_add_f32_e32 v41, v51, v53
	v_add_f32_e32 v46, v68, v71
	v_add_f32_e32 v51, v58, v59
	v_add_f32_e32 v53, v69, v72
	v_add_f32_e32 v42, v89, v116
	v_add_f32_e32 v15, v15, v73
	v_add_f32_e32 v11, v11, v17
	v_add_f32_e32 v17, v25, v29
	v_add_f32_e32 v12, v12, v30
	v_add_f32_e32 v25, v26, v119
	v_add_f32_e32 v26, v28, v102
	v_add_f32_e32 v14, v14, v103
	v_add_f32_e32 v28, v43, v121
	v_add_f32_e32 v29, v9, v7
	v_add_f32_e32 v30, v10, v6
	v_add_f32_e32 v13, v24, v13
	v_add_f32_e32 v8, v36, v39
	v_add_f32_e32 v24, v85, v93
	v_add_f32_e32 v36, v37, v47
	v_add_f32_e32 v37, v38, v74
	v_add_f32_e32 v38, v41, v54
	v_add_f32_e32 v39, v46, v75
	v_add_f32_e32 v41, v51, v60
	v_add_f32_e32 v46, v53, v76
	v_add_f32_e32 v18, v27, v18
	v_add_f32_e32 v27, v42, v120
	v_add_f32_e32 v42, v15, v77
	v_add_f32_e32 v15, v14, v107
	v_add_f32_e32 v14, v28, v125
	v_add_f32_e32 v28, v52, v29
	v_add_f32_e32 v29, v16, v30
	v_add_co_u32 v0, vcc_lo, 0x1000, v20
	v_add_f32_e32 v13, v13, v118
	v_add_f32_e32 v40, v8, v40
	;; [unrolled: 1-line block ×5, first 2 shown]
	v_add_co_ci_u32_e32 v1, vcc_lo, 0, v21, vcc_lo
	v_add_f32_e32 v23, v23, v100
	v_add_f32_e32 v38, v38, v55
	;; [unrolled: 1-line block ×3, first 2 shown]
	v_add_co_u32 v2, vcc_lo, 0x1800, v20
	v_add_f32_e32 v41, v41, v61
	v_add_f32_e32 v43, v46, v80
	;; [unrolled: 1-line block ×4, first 2 shown]
	v_add_co_ci_u32_e32 v3, vcc_lo, 0, v21, vcc_lo
	v_add_f32_e32 v46, v11, v19
	v_add_f32_e32 v31, v17, v31
	;; [unrolled: 1-line block ×8, first 2 shown]
	v_add_co_u32 v4, vcc_lo, 0x2000, v20
	v_add_f32_e32 v7, v18, v22
	v_add_f32_e32 v11, v24, v105
	;; [unrolled: 1-line block ×8, first 2 shown]
	v_add_co_ci_u32_e32 v5, vcc_lo, 0, v21, vcc_lo
	v_add_f32_e32 v25, v41, v65
	v_add_f32_e32 v24, v43, v84
	global_store_dwordx2 v[20:21], v[14:15], off offset:968
	global_store_dwordx2 v[20:21], v[12:13], off offset:1936
	;; [unrolled: 1-line block ×5, first 2 shown]
	v_add_f32_e32 v7, v48, v28
	v_add_f32_e32 v6, v32, v29
	;; [unrolled: 1-line block ×4, first 2 shown]
	global_store_dwordx2 v[0:1], v[16:17], off offset:1712
	global_store_dwordx2 v[2:3], v[18:19], off offset:632
	;; [unrolled: 1-line block ×4, first 2 shown]
	global_store_dwordx2 v[20:21], v[6:7], off
	global_store_dwordx2 v[4:5], v[26:27], off offset:1488
.LBB0_15:
	s_endpgm
	.section	.rodata,"a",@progbits
	.p2align	6, 0x0
	.amdhsa_kernel fft_rtc_fwd_len1331_factors_11_11_11_wgs_242_tpt_121_halfLds_sp_op_CI_CI_unitstride_sbrr_dirReg
		.amdhsa_group_segment_fixed_size 0
		.amdhsa_private_segment_fixed_size 0
		.amdhsa_kernarg_size 104
		.amdhsa_user_sgpr_count 6
		.amdhsa_user_sgpr_private_segment_buffer 1
		.amdhsa_user_sgpr_dispatch_ptr 0
		.amdhsa_user_sgpr_queue_ptr 0
		.amdhsa_user_sgpr_kernarg_segment_ptr 1
		.amdhsa_user_sgpr_dispatch_id 0
		.amdhsa_user_sgpr_flat_scratch_init 0
		.amdhsa_user_sgpr_private_segment_size 0
		.amdhsa_wavefront_size32 1
		.amdhsa_uses_dynamic_stack 0
		.amdhsa_system_sgpr_private_segment_wavefront_offset 0
		.amdhsa_system_sgpr_workgroup_id_x 1
		.amdhsa_system_sgpr_workgroup_id_y 0
		.amdhsa_system_sgpr_workgroup_id_z 0
		.amdhsa_system_sgpr_workgroup_info 0
		.amdhsa_system_vgpr_workitem_id 0
		.amdhsa_next_free_vgpr 126
		.amdhsa_next_free_sgpr 27
		.amdhsa_reserve_vcc 1
		.amdhsa_reserve_flat_scratch 0
		.amdhsa_float_round_mode_32 0
		.amdhsa_float_round_mode_16_64 0
		.amdhsa_float_denorm_mode_32 3
		.amdhsa_float_denorm_mode_16_64 3
		.amdhsa_dx10_clamp 1
		.amdhsa_ieee_mode 1
		.amdhsa_fp16_overflow 0
		.amdhsa_workgroup_processor_mode 1
		.amdhsa_memory_ordered 1
		.amdhsa_forward_progress 0
		.amdhsa_shared_vgpr_count 0
		.amdhsa_exception_fp_ieee_invalid_op 0
		.amdhsa_exception_fp_denorm_src 0
		.amdhsa_exception_fp_ieee_div_zero 0
		.amdhsa_exception_fp_ieee_overflow 0
		.amdhsa_exception_fp_ieee_underflow 0
		.amdhsa_exception_fp_ieee_inexact 0
		.amdhsa_exception_int_div_zero 0
	.end_amdhsa_kernel
	.text
.Lfunc_end0:
	.size	fft_rtc_fwd_len1331_factors_11_11_11_wgs_242_tpt_121_halfLds_sp_op_CI_CI_unitstride_sbrr_dirReg, .Lfunc_end0-fft_rtc_fwd_len1331_factors_11_11_11_wgs_242_tpt_121_halfLds_sp_op_CI_CI_unitstride_sbrr_dirReg
                                        ; -- End function
	.section	.AMDGPU.csdata,"",@progbits
; Kernel info:
; codeLenInByte = 8828
; NumSgprs: 29
; NumVgprs: 126
; ScratchSize: 0
; MemoryBound: 0
; FloatMode: 240
; IeeeMode: 1
; LDSByteSize: 0 bytes/workgroup (compile time only)
; SGPRBlocks: 3
; VGPRBlocks: 15
; NumSGPRsForWavesPerEU: 29
; NumVGPRsForWavesPerEU: 126
; Occupancy: 8
; WaveLimiterHint : 1
; COMPUTE_PGM_RSRC2:SCRATCH_EN: 0
; COMPUTE_PGM_RSRC2:USER_SGPR: 6
; COMPUTE_PGM_RSRC2:TRAP_HANDLER: 0
; COMPUTE_PGM_RSRC2:TGID_X_EN: 1
; COMPUTE_PGM_RSRC2:TGID_Y_EN: 0
; COMPUTE_PGM_RSRC2:TGID_Z_EN: 0
; COMPUTE_PGM_RSRC2:TIDIG_COMP_CNT: 0
	.text
	.p2alignl 6, 3214868480
	.fill 48, 4, 3214868480
	.type	__hip_cuid_d89b91d9a731bae8,@object ; @__hip_cuid_d89b91d9a731bae8
	.section	.bss,"aw",@nobits
	.globl	__hip_cuid_d89b91d9a731bae8
__hip_cuid_d89b91d9a731bae8:
	.byte	0                               ; 0x0
	.size	__hip_cuid_d89b91d9a731bae8, 1

	.ident	"AMD clang version 19.0.0git (https://github.com/RadeonOpenCompute/llvm-project roc-6.4.0 25133 c7fe45cf4b819c5991fe208aaa96edf142730f1d)"
	.section	".note.GNU-stack","",@progbits
	.addrsig
	.addrsig_sym __hip_cuid_d89b91d9a731bae8
	.amdgpu_metadata
---
amdhsa.kernels:
  - .args:
      - .actual_access:  read_only
        .address_space:  global
        .offset:         0
        .size:           8
        .value_kind:     global_buffer
      - .offset:         8
        .size:           8
        .value_kind:     by_value
      - .actual_access:  read_only
        .address_space:  global
        .offset:         16
        .size:           8
        .value_kind:     global_buffer
      - .actual_access:  read_only
        .address_space:  global
        .offset:         24
        .size:           8
        .value_kind:     global_buffer
      - .actual_access:  read_only
        .address_space:  global
        .offset:         32
        .size:           8
        .value_kind:     global_buffer
      - .offset:         40
        .size:           8
        .value_kind:     by_value
      - .actual_access:  read_only
        .address_space:  global
        .offset:         48
        .size:           8
        .value_kind:     global_buffer
      - .actual_access:  read_only
        .address_space:  global
        .offset:         56
        .size:           8
        .value_kind:     global_buffer
      - .offset:         64
        .size:           4
        .value_kind:     by_value
      - .actual_access:  read_only
        .address_space:  global
        .offset:         72
        .size:           8
        .value_kind:     global_buffer
      - .actual_access:  read_only
        .address_space:  global
        .offset:         80
        .size:           8
        .value_kind:     global_buffer
      - .actual_access:  read_only
        .address_space:  global
        .offset:         88
        .size:           8
        .value_kind:     global_buffer
      - .actual_access:  write_only
        .address_space:  global
        .offset:         96
        .size:           8
        .value_kind:     global_buffer
    .group_segment_fixed_size: 0
    .kernarg_segment_align: 8
    .kernarg_segment_size: 104
    .language:       OpenCL C
    .language_version:
      - 2
      - 0
    .max_flat_workgroup_size: 242
    .name:           fft_rtc_fwd_len1331_factors_11_11_11_wgs_242_tpt_121_halfLds_sp_op_CI_CI_unitstride_sbrr_dirReg
    .private_segment_fixed_size: 0
    .sgpr_count:     29
    .sgpr_spill_count: 0
    .symbol:         fft_rtc_fwd_len1331_factors_11_11_11_wgs_242_tpt_121_halfLds_sp_op_CI_CI_unitstride_sbrr_dirReg.kd
    .uniform_work_group_size: 1
    .uses_dynamic_stack: false
    .vgpr_count:     126
    .vgpr_spill_count: 0
    .wavefront_size: 32
    .workgroup_processor_mode: 1
amdhsa.target:   amdgcn-amd-amdhsa--gfx1030
amdhsa.version:
  - 1
  - 2
...

	.end_amdgpu_metadata
